;; amdgpu-corpus repo=ROCm/rocFFT kind=compiled arch=gfx1201 opt=O3
	.text
	.amdgcn_target "amdgcn-amd-amdhsa--gfx1201"
	.amdhsa_code_object_version 6
	.protected	fft_rtc_back_len1170_factors_2_13_3_5_3_wgs_117_tpt_117_dp_op_CI_CI_unitstride_sbrr_dirReg ; -- Begin function fft_rtc_back_len1170_factors_2_13_3_5_3_wgs_117_tpt_117_dp_op_CI_CI_unitstride_sbrr_dirReg
	.globl	fft_rtc_back_len1170_factors_2_13_3_5_3_wgs_117_tpt_117_dp_op_CI_CI_unitstride_sbrr_dirReg
	.p2align	8
	.type	fft_rtc_back_len1170_factors_2_13_3_5_3_wgs_117_tpt_117_dp_op_CI_CI_unitstride_sbrr_dirReg,@function
fft_rtc_back_len1170_factors_2_13_3_5_3_wgs_117_tpt_117_dp_op_CI_CI_unitstride_sbrr_dirReg: ; @fft_rtc_back_len1170_factors_2_13_3_5_3_wgs_117_tpt_117_dp_op_CI_CI_unitstride_sbrr_dirReg
; %bb.0:
	s_clause 0x2
	s_load_b128 s[4:7], s[0:1], 0x0
	s_load_b128 s[8:11], s[0:1], 0x58
	;; [unrolled: 1-line block ×3, first 2 shown]
	v_mul_u32_u24_e32 v1, 0x231, v0
	v_mov_b32_e32 v4, 0
	v_mov_b32_e32 v5, 0
	s_delay_alu instid0(VALU_DEP_3) | instskip(NEXT) | instid1(VALU_DEP_1)
	v_lshrrev_b32_e32 v2, 16, v1
	v_dual_mov_b32 v1, 0 :: v_dual_add_nc_u32 v6, ttmp9, v2
	s_delay_alu instid0(VALU_DEP_1) | instskip(SKIP_2) | instid1(VALU_DEP_1)
	v_mov_b32_e32 v7, v1
	s_wait_kmcnt 0x0
	v_cmp_lt_u64_e64 s2, s[6:7], 2
	s_and_b32 vcc_lo, exec_lo, s2
	s_cbranch_vccnz .LBB0_8
; %bb.1:
	s_load_b64 s[2:3], s[0:1], 0x10
	v_mov_b32_e32 v4, 0
	v_mov_b32_e32 v5, 0
	s_add_nc_u64 s[16:17], s[14:15], 8
	s_add_nc_u64 s[18:19], s[12:13], 8
	s_mov_b64 s[20:21], 1
	s_delay_alu instid0(VALU_DEP_1)
	v_dual_mov_b32 v53, v5 :: v_dual_mov_b32 v52, v4
	s_wait_kmcnt 0x0
	s_add_nc_u64 s[22:23], s[2:3], 8
	s_mov_b32 s3, 0
.LBB0_2:                                ; =>This Inner Loop Header: Depth=1
	s_load_b64 s[24:25], s[22:23], 0x0
                                        ; implicit-def: $vgpr54_vgpr55
	s_mov_b32 s2, exec_lo
	s_wait_kmcnt 0x0
	v_or_b32_e32 v2, s25, v7
	s_delay_alu instid0(VALU_DEP_1)
	v_cmpx_ne_u64_e32 0, v[1:2]
	s_wait_alu 0xfffe
	s_xor_b32 s26, exec_lo, s2
	s_cbranch_execz .LBB0_4
; %bb.3:                                ;   in Loop: Header=BB0_2 Depth=1
	s_cvt_f32_u32 s2, s24
	s_cvt_f32_u32 s27, s25
	s_sub_nc_u64 s[30:31], 0, s[24:25]
	s_wait_alu 0xfffe
	s_delay_alu instid0(SALU_CYCLE_1) | instskip(SKIP_1) | instid1(SALU_CYCLE_2)
	s_fmamk_f32 s2, s27, 0x4f800000, s2
	s_wait_alu 0xfffe
	v_s_rcp_f32 s2, s2
	s_delay_alu instid0(TRANS32_DEP_1) | instskip(SKIP_1) | instid1(SALU_CYCLE_2)
	s_mul_f32 s2, s2, 0x5f7ffffc
	s_wait_alu 0xfffe
	s_mul_f32 s27, s2, 0x2f800000
	s_wait_alu 0xfffe
	s_delay_alu instid0(SALU_CYCLE_2) | instskip(SKIP_1) | instid1(SALU_CYCLE_2)
	s_trunc_f32 s27, s27
	s_wait_alu 0xfffe
	s_fmamk_f32 s2, s27, 0xcf800000, s2
	s_cvt_u32_f32 s29, s27
	s_wait_alu 0xfffe
	s_delay_alu instid0(SALU_CYCLE_1) | instskip(SKIP_1) | instid1(SALU_CYCLE_2)
	s_cvt_u32_f32 s28, s2
	s_wait_alu 0xfffe
	s_mul_u64 s[34:35], s[30:31], s[28:29]
	s_wait_alu 0xfffe
	s_mul_hi_u32 s37, s28, s35
	s_mul_i32 s36, s28, s35
	s_mul_hi_u32 s2, s28, s34
	s_mul_i32 s33, s29, s34
	s_wait_alu 0xfffe
	s_add_nc_u64 s[36:37], s[2:3], s[36:37]
	s_mul_hi_u32 s27, s29, s34
	s_mul_hi_u32 s38, s29, s35
	s_add_co_u32 s2, s36, s33
	s_wait_alu 0xfffe
	s_add_co_ci_u32 s2, s37, s27
	s_mul_i32 s34, s29, s35
	s_add_co_ci_u32 s35, s38, 0
	s_wait_alu 0xfffe
	s_add_nc_u64 s[34:35], s[2:3], s[34:35]
	s_wait_alu 0xfffe
	v_add_co_u32 v2, s2, s28, s34
	s_delay_alu instid0(VALU_DEP_1) | instskip(SKIP_1) | instid1(VALU_DEP_1)
	s_cmp_lg_u32 s2, 0
	s_add_co_ci_u32 s29, s29, s35
	v_readfirstlane_b32 s28, v2
	s_wait_alu 0xfffe
	s_delay_alu instid0(VALU_DEP_1)
	s_mul_u64 s[30:31], s[30:31], s[28:29]
	s_wait_alu 0xfffe
	s_mul_hi_u32 s35, s28, s31
	s_mul_i32 s34, s28, s31
	s_mul_hi_u32 s2, s28, s30
	s_mul_i32 s33, s29, s30
	s_wait_alu 0xfffe
	s_add_nc_u64 s[34:35], s[2:3], s[34:35]
	s_mul_hi_u32 s27, s29, s30
	s_mul_hi_u32 s28, s29, s31
	s_wait_alu 0xfffe
	s_add_co_u32 s2, s34, s33
	s_add_co_ci_u32 s2, s35, s27
	s_mul_i32 s30, s29, s31
	s_add_co_ci_u32 s31, s28, 0
	s_wait_alu 0xfffe
	s_add_nc_u64 s[30:31], s[2:3], s[30:31]
	s_wait_alu 0xfffe
	v_add_co_u32 v8, s2, v2, s30
	s_delay_alu instid0(VALU_DEP_1) | instskip(SKIP_1) | instid1(VALU_DEP_1)
	s_cmp_lg_u32 s2, 0
	s_add_co_ci_u32 s2, s29, s31
	v_mul_hi_u32 v12, v6, v8
	s_wait_alu 0xfffe
	v_mad_co_u64_u32 v[2:3], null, v6, s2, 0
	v_mad_co_u64_u32 v[8:9], null, v7, v8, 0
	;; [unrolled: 1-line block ×3, first 2 shown]
	s_delay_alu instid0(VALU_DEP_3) | instskip(SKIP_1) | instid1(VALU_DEP_4)
	v_add_co_u32 v2, vcc_lo, v12, v2
	s_wait_alu 0xfffd
	v_add_co_ci_u32_e32 v3, vcc_lo, 0, v3, vcc_lo
	s_delay_alu instid0(VALU_DEP_2) | instskip(SKIP_1) | instid1(VALU_DEP_2)
	v_add_co_u32 v2, vcc_lo, v2, v8
	s_wait_alu 0xfffd
	v_add_co_ci_u32_e32 v2, vcc_lo, v3, v9, vcc_lo
	s_wait_alu 0xfffd
	v_add_co_ci_u32_e32 v3, vcc_lo, 0, v11, vcc_lo
	s_delay_alu instid0(VALU_DEP_2) | instskip(SKIP_1) | instid1(VALU_DEP_2)
	v_add_co_u32 v8, vcc_lo, v2, v10
	s_wait_alu 0xfffd
	v_add_co_ci_u32_e32 v9, vcc_lo, 0, v3, vcc_lo
	s_delay_alu instid0(VALU_DEP_2) | instskip(SKIP_1) | instid1(VALU_DEP_3)
	v_mul_lo_u32 v10, s25, v8
	v_mad_co_u64_u32 v[2:3], null, s24, v8, 0
	v_mul_lo_u32 v11, s24, v9
	s_delay_alu instid0(VALU_DEP_2) | instskip(NEXT) | instid1(VALU_DEP_2)
	v_sub_co_u32 v2, vcc_lo, v6, v2
	v_add3_u32 v3, v3, v11, v10
	s_delay_alu instid0(VALU_DEP_1) | instskip(SKIP_1) | instid1(VALU_DEP_1)
	v_sub_nc_u32_e32 v10, v7, v3
	s_wait_alu 0xfffd
	v_subrev_co_ci_u32_e64 v10, s2, s25, v10, vcc_lo
	v_add_co_u32 v11, s2, v8, 2
	s_wait_alu 0xf1ff
	v_add_co_ci_u32_e64 v12, s2, 0, v9, s2
	v_sub_co_u32 v13, s2, v2, s24
	v_sub_co_ci_u32_e32 v3, vcc_lo, v7, v3, vcc_lo
	s_wait_alu 0xf1ff
	v_subrev_co_ci_u32_e64 v10, s2, 0, v10, s2
	s_delay_alu instid0(VALU_DEP_3) | instskip(NEXT) | instid1(VALU_DEP_3)
	v_cmp_le_u32_e32 vcc_lo, s24, v13
	v_cmp_eq_u32_e64 s2, s25, v3
	s_wait_alu 0xfffd
	v_cndmask_b32_e64 v13, 0, -1, vcc_lo
	v_cmp_le_u32_e32 vcc_lo, s25, v10
	s_wait_alu 0xfffd
	v_cndmask_b32_e64 v14, 0, -1, vcc_lo
	v_cmp_le_u32_e32 vcc_lo, s24, v2
	;; [unrolled: 3-line block ×3, first 2 shown]
	s_wait_alu 0xfffd
	v_cndmask_b32_e64 v15, 0, -1, vcc_lo
	v_cmp_eq_u32_e32 vcc_lo, s25, v10
	s_wait_alu 0xf1ff
	s_delay_alu instid0(VALU_DEP_2)
	v_cndmask_b32_e64 v2, v15, v2, s2
	s_wait_alu 0xfffd
	v_cndmask_b32_e32 v10, v14, v13, vcc_lo
	v_add_co_u32 v13, vcc_lo, v8, 1
	s_wait_alu 0xfffd
	v_add_co_ci_u32_e32 v14, vcc_lo, 0, v9, vcc_lo
	s_delay_alu instid0(VALU_DEP_3) | instskip(SKIP_1) | instid1(VALU_DEP_2)
	v_cmp_ne_u32_e32 vcc_lo, 0, v10
	s_wait_alu 0xfffd
	v_dual_cndmask_b32 v3, v14, v12 :: v_dual_cndmask_b32 v10, v13, v11
	v_cmp_ne_u32_e32 vcc_lo, 0, v2
	s_wait_alu 0xfffd
	s_delay_alu instid0(VALU_DEP_2)
	v_dual_cndmask_b32 v55, v9, v3 :: v_dual_cndmask_b32 v54, v8, v10
.LBB0_4:                                ;   in Loop: Header=BB0_2 Depth=1
	s_wait_alu 0xfffe
	s_and_not1_saveexec_b32 s2, s26
	s_cbranch_execz .LBB0_6
; %bb.5:                                ;   in Loop: Header=BB0_2 Depth=1
	v_cvt_f32_u32_e32 v2, s24
	s_sub_co_i32 s26, 0, s24
	v_mov_b32_e32 v55, v1
	s_delay_alu instid0(VALU_DEP_2) | instskip(NEXT) | instid1(TRANS32_DEP_1)
	v_rcp_iflag_f32_e32 v2, v2
	v_mul_f32_e32 v2, 0x4f7ffffe, v2
	s_delay_alu instid0(VALU_DEP_1) | instskip(SKIP_1) | instid1(VALU_DEP_1)
	v_cvt_u32_f32_e32 v2, v2
	s_wait_alu 0xfffe
	v_mul_lo_u32 v3, s26, v2
	s_delay_alu instid0(VALU_DEP_1) | instskip(NEXT) | instid1(VALU_DEP_1)
	v_mul_hi_u32 v3, v2, v3
	v_add_nc_u32_e32 v2, v2, v3
	s_delay_alu instid0(VALU_DEP_1) | instskip(NEXT) | instid1(VALU_DEP_1)
	v_mul_hi_u32 v2, v6, v2
	v_mul_lo_u32 v3, v2, s24
	v_add_nc_u32_e32 v8, 1, v2
	s_delay_alu instid0(VALU_DEP_2) | instskip(NEXT) | instid1(VALU_DEP_1)
	v_sub_nc_u32_e32 v3, v6, v3
	v_subrev_nc_u32_e32 v9, s24, v3
	v_cmp_le_u32_e32 vcc_lo, s24, v3
	s_wait_alu 0xfffd
	s_delay_alu instid0(VALU_DEP_2) | instskip(NEXT) | instid1(VALU_DEP_1)
	v_dual_cndmask_b32 v3, v3, v9 :: v_dual_cndmask_b32 v2, v2, v8
	v_cmp_le_u32_e32 vcc_lo, s24, v3
	s_delay_alu instid0(VALU_DEP_2) | instskip(SKIP_1) | instid1(VALU_DEP_1)
	v_add_nc_u32_e32 v8, 1, v2
	s_wait_alu 0xfffd
	v_cndmask_b32_e32 v54, v2, v8, vcc_lo
.LBB0_6:                                ;   in Loop: Header=BB0_2 Depth=1
	s_wait_alu 0xfffe
	s_or_b32 exec_lo, exec_lo, s2
	v_mul_lo_u32 v8, v55, s24
	s_delay_alu instid0(VALU_DEP_2)
	v_mul_lo_u32 v9, v54, s25
	s_load_b64 s[26:27], s[18:19], 0x0
	v_mad_co_u64_u32 v[2:3], null, v54, s24, 0
	s_load_b64 s[24:25], s[16:17], 0x0
	s_add_nc_u64 s[20:21], s[20:21], 1
	s_add_nc_u64 s[16:17], s[16:17], 8
	s_wait_alu 0xfffe
	v_cmp_ge_u64_e64 s2, s[20:21], s[6:7]
	s_add_nc_u64 s[18:19], s[18:19], 8
	s_add_nc_u64 s[22:23], s[22:23], 8
	v_add3_u32 v3, v3, v9, v8
	v_sub_co_u32 v2, vcc_lo, v6, v2
	s_wait_alu 0xfffd
	s_delay_alu instid0(VALU_DEP_2) | instskip(SKIP_2) | instid1(VALU_DEP_1)
	v_sub_co_ci_u32_e32 v3, vcc_lo, v7, v3, vcc_lo
	s_and_b32 vcc_lo, exec_lo, s2
	s_wait_kmcnt 0x0
	v_mul_lo_u32 v6, s26, v3
	v_mul_lo_u32 v7, s27, v2
	v_mad_co_u64_u32 v[4:5], null, s26, v2, v[4:5]
	v_mul_lo_u32 v3, s24, v3
	v_mul_lo_u32 v8, s25, v2
	v_mad_co_u64_u32 v[52:53], null, s24, v2, v[52:53]
	s_delay_alu instid0(VALU_DEP_4) | instskip(NEXT) | instid1(VALU_DEP_2)
	v_add3_u32 v5, v7, v5, v6
	v_add3_u32 v53, v8, v53, v3
	s_wait_alu 0xfffe
	s_cbranch_vccnz .LBB0_9
; %bb.7:                                ;   in Loop: Header=BB0_2 Depth=1
	v_dual_mov_b32 v6, v54 :: v_dual_mov_b32 v7, v55
	s_branch .LBB0_2
.LBB0_8:
	v_dual_mov_b32 v53, v5 :: v_dual_mov_b32 v52, v4
	v_dual_mov_b32 v55, v7 :: v_dual_mov_b32 v54, v6
.LBB0_9:
	s_load_b64 s[0:1], s[0:1], 0x28
	v_mul_hi_u32 v1, 0x2302303, v0
	s_lshl_b64 s[6:7], s[6:7], 3
                                        ; implicit-def: $vgpr188
	s_wait_kmcnt 0x0
	v_cmp_gt_u64_e32 vcc_lo, s[0:1], v[54:55]
	v_cmp_le_u64_e64 s0, s[0:1], v[54:55]
	s_delay_alu instid0(VALU_DEP_1)
	s_and_saveexec_b32 s1, s0
	s_wait_alu 0xfffe
	s_xor_b32 s0, exec_lo, s1
; %bb.10:
	v_mul_u32_u24_e32 v1, 0x75, v1
                                        ; implicit-def: $vgpr4_vgpr5
	s_delay_alu instid0(VALU_DEP_1)
	v_sub_nc_u32_e32 v188, v0, v1
                                        ; implicit-def: $vgpr1
                                        ; implicit-def: $vgpr0
; %bb.11:
	s_wait_alu 0xfffe
	s_or_saveexec_b32 s1, s0
	s_add_nc_u64 s[2:3], s[14:15], s[6:7]
                                        ; implicit-def: $vgpr30_vgpr31
                                        ; implicit-def: $vgpr34_vgpr35
                                        ; implicit-def: $vgpr38_vgpr39
                                        ; implicit-def: $vgpr26_vgpr27
                                        ; implicit-def: $vgpr10_vgpr11
                                        ; implicit-def: $vgpr22_vgpr23
                                        ; implicit-def: $vgpr6_vgpr7
                                        ; implicit-def: $vgpr14_vgpr15
                                        ; implicit-def: $vgpr18_vgpr19
                                        ; implicit-def: $vgpr2_vgpr3
	s_wait_alu 0xfffe
	s_xor_b32 exec_lo, exec_lo, s1
	s_cbranch_execz .LBB0_13
; %bb.12:
	s_add_nc_u64 s[6:7], s[12:13], s[6:7]
	s_load_b64 s[6:7], s[6:7], 0x0
	s_wait_kmcnt 0x0
	v_mul_lo_u32 v6, s7, v54
	v_mul_lo_u32 v7, s6, v55
	v_mad_co_u64_u32 v[2:3], null, s6, v54, 0
	s_delay_alu instid0(VALU_DEP_1) | instskip(SKIP_1) | instid1(VALU_DEP_2)
	v_add3_u32 v3, v3, v7, v6
	v_mul_u32_u24_e32 v6, 0x75, v1
	v_lshlrev_b64_e32 v[1:2], 4, v[2:3]
	v_lshlrev_b64_e32 v[3:4], 4, v[4:5]
	s_delay_alu instid0(VALU_DEP_3) | instskip(NEXT) | instid1(VALU_DEP_3)
	v_sub_nc_u32_e32 v188, v0, v6
	v_add_co_u32 v0, s0, s8, v1
	s_wait_alu 0xf1ff
	s_delay_alu instid0(VALU_DEP_4) | instskip(NEXT) | instid1(VALU_DEP_3)
	v_add_co_ci_u32_e64 v1, s0, s9, v2, s0
	v_lshlrev_b32_e32 v2, 4, v188
	s_delay_alu instid0(VALU_DEP_3) | instskip(SKIP_1) | instid1(VALU_DEP_3)
	v_add_co_u32 v0, s0, v0, v3
	s_wait_alu 0xf1ff
	v_add_co_ci_u32_e64 v1, s0, v1, v4, s0
	s_delay_alu instid0(VALU_DEP_2) | instskip(SKIP_1) | instid1(VALU_DEP_2)
	v_add_co_u32 v28, s0, v0, v2
	s_wait_alu 0xf1ff
	v_add_co_ci_u32_e64 v29, s0, 0, v1, s0
	s_clause 0x9
	global_load_b128 v[0:3], v[28:29], off
	global_load_b128 v[12:15], v[28:29], off offset:1872
	global_load_b128 v[4:7], v[28:29], off offset:11232
	;; [unrolled: 1-line block ×9, first 2 shown]
.LBB0_13:
	s_or_b32 exec_lo, exec_lo, s1
	s_wait_loadcnt 0x3
	v_add_f64_e64 v[40:41], v[0:1], -v[16:17]
	v_add_f64_e64 v[42:43], v[2:3], -v[18:19]
	v_add_f64_e64 v[16:17], v[12:13], -v[4:5]
	v_add_f64_e64 v[18:19], v[14:15], -v[6:7]
	v_add_f64_e64 v[8:9], v[20:21], -v[8:9]
	v_add_f64_e64 v[10:11], v[22:23], -v[10:11]
	s_wait_loadcnt 0x1
	v_add_f64_e64 v[4:5], v[24:25], -v[36:37]
	v_add_f64_e64 v[6:7], v[26:27], -v[38:39]
	s_wait_loadcnt 0x0
	v_add_f64_e64 v[28:29], v[32:33], -v[28:29]
	v_add_f64_e64 v[30:31], v[34:35], -v[30:31]
	s_load_b64 s[2:3], s[2:3], 0x0
	v_add_nc_u32_e32 v190, 0x75, v188
	v_add_nc_u32_e32 v191, 0xea, v188
	v_add_nc_u32_e32 v189, 0x15f, v188
	v_cmp_gt_u32_e64 s0, 0x5a, v188
                                        ; implicit-def: $vgpr50_vgpr51
                                        ; implicit-def: $vgpr46_vgpr47
	v_fma_f64 v[0:1], v[0:1], 2.0, -v[40:41]
	v_fma_f64 v[2:3], v[2:3], 2.0, -v[42:43]
	;; [unrolled: 1-line block ×10, first 2 shown]
	v_lshl_add_u32 v32, v188, 5, 0
	v_lshl_add_u32 v33, v190, 5, 0
	;; [unrolled: 1-line block ×4, first 2 shown]
	ds_store_b128 v32, v[0:3]
	ds_store_b128 v32, v[40:43] offset:16
	ds_store_b128 v33, v[36:39]
	ds_store_b128 v33, v[16:19] offset:16
	;; [unrolled: 2-line block ×4, first 2 shown]
	ds_store_b128 v32, v[24:27] offset:14976
	ds_store_b128 v32, v[28:31] offset:14992
	global_wb scope:SCOPE_SE
	s_wait_dscnt 0x0
	s_wait_kmcnt 0x0
	s_barrier_signal -1
	s_barrier_wait -1
	global_inv scope:SCOPE_SE
                                        ; implicit-def: $vgpr34_vgpr35
	s_and_saveexec_b32 s1, s0
	s_cbranch_execz .LBB0_15
; %bb.14:
	v_lshlrev_b32_e32 v0, 4, v188
	s_delay_alu instid0(VALU_DEP_1)
	v_sub_nc_u32_e32 v48, v32, v0
	ds_load_b128 v[0:3], v48
	ds_load_b128 v[40:43], v48 offset:1440
	ds_load_b128 v[36:39], v48 offset:2880
	ds_load_b128 v[16:19], v48 offset:4320
	ds_load_b128 v[20:23], v48 offset:5760
	ds_load_b128 v[8:11], v48 offset:7200
	ds_load_b128 v[12:15], v48 offset:8640
	ds_load_b128 v[4:7], v48 offset:10080
	ds_load_b128 v[24:27], v48 offset:11520
	ds_load_b128 v[28:31], v48 offset:12960
	ds_load_b128 v[32:35], v48 offset:14400
	ds_load_b128 v[44:47], v48 offset:15840
	ds_load_b128 v[48:51], v48 offset:17280
.LBB0_15:
	s_wait_alu 0xfffe
	s_or_b32 exec_lo, exec_lo, s1
	v_and_b32_e32 v192, 1, v188
	s_mov_b32 s8, 0x1ea71119
	s_mov_b32 s16, 0x42a4c3d2
	;; [unrolled: 1-line block ×4, first 2 shown]
	v_mul_u32_u24_e32 v56, 12, v192
	s_mov_b32 s14, 0xebaa3ed8
	s_mov_b32 s34, 0x66966769
	;; [unrolled: 1-line block ×4, first 2 shown]
	v_lshlrev_b32_e32 v92, 4, v56
	s_mov_b32 s7, 0xbfd6b1d8
	s_mov_b32 s13, 0xbfedeba7
	;; [unrolled: 1-line block ×4, first 2 shown]
	s_clause 0xb
	global_load_b128 v[56:59], v92, s[4:5]
	global_load_b128 v[60:63], v92, s[4:5] offset:176
	global_load_b128 v[64:67], v92, s[4:5] offset:16
	;; [unrolled: 1-line block ×11, first 2 shown]
	s_mov_b32 s24, 0x4bc48dbf
	s_mov_b32 s18, 0x93053d00
	;; [unrolled: 1-line block ×16, first 2 shown]
	s_wait_alu 0xfffe
	s_mov_b32 s26, s34
	s_mov_b32 s36, s24
	;; [unrolled: 1-line block ×6, first 2 shown]
	global_wb scope:SCOPE_SE
	s_wait_loadcnt_dscnt 0x0
	s_barrier_signal -1
	s_barrier_wait -1
	global_inv scope:SCOPE_SE
	v_mul_f64_e32 v[92:93], v[40:41], v[58:59]
	v_mul_f64_e32 v[98:99], v[48:49], v[62:63]
	;; [unrolled: 1-line block ×8, first 2 shown]
	v_fma_f64 v[168:169], v[42:43], v[56:57], -v[92:93]
	v_fma_f64 v[42:43], v[50:51], v[60:61], -v[98:99]
	v_mul_f64_e32 v[50:51], v[16:17], v[74:75]
	v_mul_f64_e32 v[92:93], v[32:33], v[78:79]
	v_fma_f64 v[106:107], v[38:39], v[64:65], -v[104:105]
	v_fma_f64 v[46:47], v[46:47], v[68:69], -v[108:109]
	v_fma_f64 v[108:109], v[40:41], v[56:57], v[58:59]
	v_fma_f64 v[38:39], v[48:49], v[60:61], v[62:63]
	v_mul_f64_e32 v[48:49], v[18:19], v[74:75]
	v_mul_f64_e32 v[56:57], v[20:21], v[82:83]
	;; [unrolled: 1-line block ×4, first 2 shown]
	v_fma_f64 v[126:127], v[36:37], v[64:65], v[66:67]
	v_mul_f64_e32 v[36:37], v[22:23], v[82:83]
	v_mul_f64_e32 v[64:65], v[30:31], v[86:87]
	;; [unrolled: 1-line block ×3, first 2 shown]
	v_add_f64_e64 v[60:61], v[168:169], -v[42:43]
	v_add_f64_e32 v[40:41], v[168:169], v[42:43]
	v_fma_f64 v[112:113], v[18:19], v[72:73], -v[50:51]
	v_fma_f64 v[34:35], v[34:35], v[76:77], -v[92:93]
	v_fma_f64 v[18:19], v[44:45], v[68:69], v[70:71]
	v_add_f64_e64 v[104:105], v[106:107], -v[46:47]
	v_add_f64_e32 v[92:93], v[106:107], v[46:47]
	v_add_f64_e32 v[98:99], v[108:109], v[38:39]
	v_add_f64_e64 v[134:135], v[108:109], -v[38:39]
	v_mul_f64_e32 v[44:45], v[8:9], v[90:91]
	v_mul_f64_e32 v[50:51], v[24:25], v[96:97]
	v_fma_f64 v[186:187], v[16:17], v[72:73], v[48:49]
	v_fma_f64 v[182:183], v[22:23], v[80:81], -v[56:57]
	v_fma_f64 v[16:17], v[32:33], v[76:77], v[58:59]
	v_fma_f64 v[22:23], v[30:31], v[84:85], -v[62:63]
	v_mul_f64_e32 v[70:71], v[10:11], v[90:91]
	v_mul_f64_e32 v[72:73], v[12:13], v[102:103]
	;; [unrolled: 1-line block ×3, first 2 shown]
	v_fma_f64 v[184:185], v[20:21], v[80:81], v[36:37]
	v_fma_f64 v[20:21], v[28:29], v[84:85], v[64:65]
	v_mul_f64_e32 v[96:97], v[14:15], v[102:103]
	v_mul_f64_e32 v[102:103], v[6:7], v[195:196]
	v_fma_f64 v[128:129], v[6:7], v[193:194], -v[74:75]
	v_mul_f64_e32 v[116:117], s[16:17], v[60:61]
	v_mul_f64_e32 v[122:123], s[8:9], v[40:41]
	;; [unrolled: 1-line block ×6, first 2 shown]
	v_add_f64_e64 v[170:171], v[112:113], -v[34:35]
	v_add_f64_e32 v[120:121], v[112:113], v[34:35]
	v_add_f64_e32 v[110:111], v[126:127], v[18:19]
	v_add_f64_e64 v[174:175], v[126:127], -v[18:19]
	v_mul_f64_e32 v[124:125], s[12:13], v[104:105]
	v_mul_f64_e32 v[130:131], s[6:7], v[92:93]
	;; [unrolled: 1-line block ×6, first 2 shown]
	v_fma_f64 v[160:161], v[10:11], v[88:89], -v[44:45]
	v_fma_f64 v[58:59], v[26:27], v[94:95], -v[50:51]
	v_add_f64_e32 v[118:119], v[186:187], v[16:17]
	v_add_f64_e64 v[178:179], v[186:187], -v[16:17]
	v_add_f64_e64 v[114:115], v[182:183], -v[22:23]
	v_add_f64_e32 v[30:31], v[182:183], v[22:23]
	v_fma_f64 v[166:167], v[8:9], v[88:89], v[70:71]
	v_fma_f64 v[152:153], v[14:15], v[100:101], -v[72:73]
	v_fma_f64 v[82:83], v[24:25], v[94:95], v[76:77]
	v_add_f64_e32 v[74:75], v[184:185], v[20:21]
	v_add_f64_e64 v[132:133], v[184:185], -v[20:21]
	v_fma_f64 v[164:165], v[12:13], v[100:101], v[96:97]
	v_fma_f64 v[142:143], v[4:5], v[193:194], v[102:103]
	v_fma_f64 v[32:33], v[98:99], s[8:9], -v[116:117]
	v_fma_f64 v[48:49], v[134:135], s[16:17], v[122:123]
	v_fma_f64 v[56:57], v[98:99], s[14:15], -v[156:157]
	;; [unrolled: 2-line block ×3, first 2 shown]
	v_fma_f64 v[68:69], v[134:135], s[12:13], v[176:177]
	v_mul_f64_e32 v[144:145], s[24:25], v[170:171]
	v_mul_f64_e32 v[148:149], s[18:19], v[120:121]
	;; [unrolled: 1-line block ×6, first 2 shown]
	v_fma_f64 v[10:11], v[110:111], s[6:7], -v[124:125]
	v_fma_f64 v[28:29], v[174:175], s[12:13], v[130:131]
	v_fma_f64 v[36:37], v[110:111], s[18:19], -v[136:137]
	v_fma_f64 v[44:45], v[174:175], s[24:25], v[138:139]
	;; [unrolled: 2-line block ×3, first 2 shown]
	v_add_f64_e64 v[94:95], v[160:161], -v[58:59]
	v_add_f64_e32 v[26:27], v[160:161], v[58:59]
	v_mul_f64_e32 v[78:79], s[40:41], v[114:115]
	v_mul_f64_e32 v[80:81], s[20:21], v[30:31]
	;; [unrolled: 1-line block ×6, first 2 shown]
	v_add_f64_e64 v[100:101], v[166:167], -v[82:83]
	v_add_f64_e64 v[96:97], v[152:153], -v[128:129]
	v_add_f64_e32 v[24:25], v[152:153], v[128:129]
	v_add_f64_e64 v[102:103], v[164:165], -v[142:143]
	v_add_f64_e32 v[32:33], v[0:1], v[32:33]
	v_add_f64_e32 v[48:49], v[2:3], v[48:49]
	;; [unrolled: 1-line block ×6, first 2 shown]
	v_fma_f64 v[6:7], v[118:119], s[18:19], -v[144:145]
	v_fma_f64 v[8:9], v[178:179], s[24:25], v[148:149]
	v_fma_f64 v[14:15], v[118:119], s[6:7], -v[150:151]
	v_fma_f64 v[195:196], v[178:179], s[42:43], v[154:155]
	;; [unrolled: 2-line block ×3, first 2 shown]
	v_mul_f64_e32 v[72:73], s[36:37], v[94:95]
	v_mul_f64_e32 v[70:71], s[8:9], v[26:27]
	;; [unrolled: 1-line block ×3, first 2 shown]
	v_fma_f64 v[4:5], v[74:75], s[20:21], -v[78:79]
	v_fma_f64 v[12:13], v[132:133], s[40:41], v[80:81]
	v_fma_f64 v[193:194], v[74:75], s[22:23], -v[84:85]
	v_fma_f64 v[201:202], v[132:133], s[38:39], v[86:87]
	;; [unrolled: 2-line block ×3, first 2 shown]
	v_add_f64_e32 v[10:11], v[10:11], v[32:33]
	v_add_f64_e32 v[28:29], v[28:29], v[48:49]
	;; [unrolled: 1-line block ×7, first 2 shown]
	s_wait_alu 0xfffe
	v_mul_f64_e32 v[62:63], s[26:27], v[94:95]
	v_mul_f64_e32 v[66:67], s[14:15], v[26:27]
	;; [unrolled: 1-line block ×5, first 2 shown]
	v_fma_f64 v[211:212], v[100:101], s[16:17], v[70:71]
	v_fma_f64 v[215:216], v[100:101], s[36:37], v[76:77]
	v_add_f64_e32 v[6:7], v[6:7], v[10:11]
	v_add_f64_e32 v[8:9], v[8:9], v[28:29]
	v_add_f64_e32 v[10:11], v[14:15], v[32:33]
	v_add_f64_e32 v[14:15], v[195:196], v[36:37]
	v_add_f64_e32 v[195:196], v[197:198], v[44:45]
	v_add_f64_e32 v[197:198], v[199:200], v[50:51]
	v_add_f64_e32 v[28:29], v[164:165], v[142:143]
	v_mul_f64_e32 v[32:33], s[38:39], v[96:97]
	v_mul_f64_e32 v[36:37], s[22:23], v[24:25]
	;; [unrolled: 1-line block ×4, first 2 shown]
	v_fma_f64 v[199:200], v[48:49], s[14:15], -v[62:63]
	v_fma_f64 v[207:208], v[100:101], s[26:27], v[66:67]
	v_fma_f64 v[209:210], v[48:49], s[8:9], -v[68:69]
	v_fma_f64 v[213:214], v[48:49], s[18:19], -v[72:73]
	v_add_f64_e32 v[4:5], v[4:5], v[6:7]
	v_add_f64_e32 v[6:7], v[12:13], v[8:9]
	;; [unrolled: 1-line block ×6, first 2 shown]
	v_fma_f64 v[203:204], v[28:29], s[8:9], -v[56:57]
	v_fma_f64 v[193:194], v[28:29], s[22:23], -v[32:33]
	v_fma_f64 v[195:196], v[102:103], s[38:39], v[36:37]
	v_fma_f64 v[197:198], v[28:29], s[20:21], -v[44:45]
	v_fma_f64 v[201:202], v[102:103], s[28:29], v[50:51]
	v_fma_f64 v[205:206], v[102:103], s[30:31], v[64:65]
	v_add_f64_e32 v[4:5], v[199:200], v[4:5]
	v_add_f64_e32 v[6:7], v[207:208], v[6:7]
	;; [unrolled: 1-line block ×12, first 2 shown]
	s_and_saveexec_b32 s1, s0
	s_cbranch_execz .LBB0_17
; %bb.16:
	v_add_f64_e32 v[168:169], v[2:3], v[168:169]
	v_add_f64_e32 v[108:109], v[0:1], v[108:109]
	v_mul_f64_e32 v[193:194], s[14:15], v[98:99]
	v_mul_f64_e32 v[195:196], s[8:9], v[98:99]
	;; [unrolled: 1-line block ×25, first 2 shown]
	v_add_f64_e32 v[106:107], v[168:169], v[106:107]
	v_add_f64_e32 v[108:109], v[108:109], v[126:127]
	v_mul_f64_e32 v[126:127], s[12:13], v[134:135]
	v_mul_f64_e32 v[168:169], s[6:7], v[98:99]
	v_add_f64_e32 v[156:157], v[193:194], v[156:157]
	v_mul_f64_e32 v[193:194], s[6:7], v[110:111]
	v_add_f64_e64 v[122:123], v[122:123], -v[197:198]
	v_add_f64_e32 v[116:117], v[195:196], v[116:117]
	v_add_f64_e64 v[146:147], v[146:147], -v[215:216]
	v_add_f64_e64 v[180:181], v[180:181], -v[199:200]
	v_mul_f64_e32 v[199:200], s[26:27], v[104:105]
	v_add_f64_e32 v[140:141], v[223:224], v[140:141]
	v_fma_f64 v[223:224], v[40:41], s[20:21], v[211:212]
	v_add_f64_e64 v[154:155], v[154:155], -v[225:226]
	v_fma_f64 v[211:212], v[40:41], s[20:21], -v[211:212]
	v_mul_f64_e32 v[197:198], s[28:29], v[170:171]
	v_mul_f64_e32 v[195:196], s[16:17], v[170:171]
	;; [unrolled: 1-line block ×4, first 2 shown]
	v_add_f64_e64 v[148:149], v[148:149], -v[235:236]
	v_add_f64_e32 v[136:137], v[233:234], v[136:137]
	v_fma_f64 v[233:234], v[120:121], s[20:21], v[239:240]
	v_fma_f64 v[239:240], v[120:121], s[20:21], -v[239:240]
	v_add_f64_e64 v[130:131], v[130:131], -v[241:242]
	v_add_f64_e64 v[138:139], v[138:139], -v[227:228]
	v_add_f64_e32 v[158:159], v[219:220], v[158:159]
	v_mul_f64_e32 v[219:220], s[30:31], v[114:115]
	v_mul_f64_e32 v[227:228], s[36:37], v[132:133]
	v_add_f64_e32 v[150:151], v[231:232], v[150:151]
	v_mul_f64_e32 v[231:232], s[36:37], v[114:115]
	v_mul_f64_e32 v[114:115], s[12:13], v[114:115]
	v_add_f64_e64 v[90:91], v[90:91], -v[217:218]
	v_add_f64_e64 v[86:87], v[86:87], -v[201:202]
	;; [unrolled: 1-line block ×3, first 2 shown]
	v_add_f64_e32 v[84:85], v[229:230], v[84:85]
	v_add_f64_e32 v[88:89], v[221:222], v[88:89]
	;; [unrolled: 1-line block ×4, first 2 shown]
	v_mul_f64_e32 v[186:187], s[34:35], v[134:135]
	v_mul_f64_e32 v[106:107], s[38:39], v[102:103]
	s_mov_b32 s39, 0xbfddbe06
	v_add_f64_e64 v[126:127], v[176:177], -v[126:127]
	s_wait_alu 0xfffe
	v_mul_f64_e32 v[134:135], s[38:39], v[134:135]
	v_mul_f64_e32 v[176:177], s[18:19], v[118:119]
	v_add_f64_e32 v[168:169], v[168:169], v[172:173]
	v_mul_f64_e32 v[172:173], s[16:17], v[178:179]
	v_mul_f64_e32 v[178:179], s[34:35], v[178:179]
	v_add_f64_e32 v[124:125], v[193:194], v[124:125]
	v_add_f64_e32 v[122:123], v[2:3], v[122:123]
	;; [unrolled: 1-line block ×5, first 2 shown]
	v_fma_f64 v[201:202], v[30:31], s[18:19], -v[227:228]
	v_fma_f64 v[217:218], v[74:75], s[18:19], v[231:232]
	v_add_f64_e32 v[112:113], v[112:113], v[182:183]
	v_add_f64_e32 v[108:109], v[108:109], v[184:185]
	v_mul_f64_e32 v[182:183], s[24:25], v[60:61]
	v_mul_f64_e32 v[184:185], s[28:29], v[60:61]
	;; [unrolled: 1-line block ×3, first 2 shown]
	v_add_f64_e64 v[162:163], v[162:163], -v[186:187]
	v_mul_f64_e32 v[186:187], s[26:27], v[174:175]
	v_mul_f64_e32 v[174:175], s[16:17], v[174:175]
	v_fma_f64 v[235:236], v[40:41], s[22:23], v[134:135]
	v_fma_f64 v[241:242], v[120:121], s[8:9], v[172:173]
	v_add_f64_e32 v[144:145], v[176:177], v[144:145]
	v_fma_f64 v[172:173], v[120:121], s[8:9], -v[172:173]
	v_fma_f64 v[193:194], v[120:121], s[14:15], v[178:179]
	v_fma_f64 v[120:121], v[120:121], s[14:15], -v[178:179]
	v_add_f64_e32 v[126:127], v[2:3], v[126:127]
	v_add_f64_e32 v[168:169], v[0:1], v[168:169]
	;; [unrolled: 1-line block ×5, first 2 shown]
	v_mul_f64_e32 v[156:157], s[26:27], v[102:103]
	v_mul_f64_e32 v[130:131], s[26:27], v[96:97]
	v_mul_f64_e32 v[124:125], s[12:13], v[102:103]
	v_add_f64_e64 v[36:37], v[36:37], -v[106:107]
	v_add_f64_e32 v[112:113], v[112:113], v[160:161]
	v_add_f64_e32 v[108:109], v[108:109], v[166:167]
	v_fma_f64 v[166:167], v[40:41], s[18:19], v[205:206]
	v_fma_f64 v[215:216], v[98:99], s[18:19], -v[182:183]
	v_fma_f64 v[205:206], v[40:41], s[18:19], -v[205:206]
	;; [unrolled: 1-line block ×3, first 2 shown]
	v_fma_f64 v[184:185], v[98:99], s[20:21], v[184:185]
	v_fma_f64 v[182:183], v[98:99], s[18:19], v[182:183]
	v_fma_f64 v[40:41], v[40:41], s[22:23], -v[134:135]
	v_fma_f64 v[134:135], v[98:99], s[22:23], -v[60:61]
	v_fma_f64 v[60:61], v[98:99], s[22:23], v[60:61]
	v_fma_f64 v[98:99], v[92:93], s[22:23], v[203:204]
	v_fma_f64 v[203:204], v[92:93], s[22:23], -v[203:204]
	v_fma_f64 v[176:177], v[92:93], s[14:15], v[186:187]
	v_fma_f64 v[186:187], v[92:93], s[14:15], -v[186:187]
	v_add_f64_e32 v[162:163], v[2:3], v[162:163]
	v_add_f64_e32 v[235:236], v[2:3], v[235:236]
	v_mul_f64_e32 v[160:161], s[30:31], v[132:133]
	v_mul_f64_e32 v[132:133], s[12:13], v[132:133]
	v_add_f64_e32 v[126:127], v[146:147], v[126:127]
	v_add_f64_e32 v[140:141], v[140:141], v[168:169]
	v_mul_f64_e32 v[146:147], s[12:13], v[94:95]
	v_add_f64_e32 v[122:123], v[148:149], v[122:123]
	v_add_f64_e32 v[116:117], v[144:145], v[116:117]
	v_mul_f64_e32 v[94:95], s[28:29], v[94:95]
	v_add_f64_e32 v[136:137], v[150:151], v[136:137]
	v_fma_f64 v[150:151], v[26:27], s[22:23], -v[209:210]
	v_fma_f64 v[148:149], v[48:49], s[22:23], -v[213:214]
	v_mul_f64_e32 v[168:169], s[8:9], v[28:29]
	v_add_f64_e32 v[112:113], v[112:113], v[152:153]
	v_add_f64_e32 v[108:109], v[108:109], v[164:165]
	v_fma_f64 v[152:153], v[92:93], s[8:9], v[174:175]
	v_add_f64_e32 v[164:165], v[2:3], v[166:167]
	v_fma_f64 v[166:167], v[110:111], s[22:23], -v[207:208]
	v_add_f64_e32 v[178:179], v[0:1], v[215:216]
	v_fma_f64 v[92:93], v[92:93], s[8:9], -v[174:175]
	v_add_f64_e32 v[174:175], v[2:3], v[205:206]
	v_add_f64_e32 v[215:216], v[2:3], v[223:224]
	v_fma_f64 v[223:224], v[110:111], s[14:15], -v[199:200]
	v_fma_f64 v[199:200], v[110:111], s[14:15], v[199:200]
	v_add_f64_e32 v[184:185], v[0:1], v[184:185]
	v_fma_f64 v[205:206], v[110:111], s[22:23], v[207:208]
	v_add_f64_e32 v[182:183], v[0:1], v[182:183]
	v_add_f64_e32 v[225:226], v[0:1], v[225:226]
	v_fma_f64 v[207:208], v[118:119], s[20:21], -v[197:198]
	v_fma_f64 v[197:198], v[118:119], s[20:21], v[197:198]
	v_add_f64_e32 v[134:135], v[0:1], v[134:135]
	v_add_f64_e32 v[2:3], v[2:3], v[40:41]
	;; [unrolled: 1-line block ×3, first 2 shown]
	v_fma_f64 v[40:41], v[118:119], s[8:9], -v[195:196]
	v_fma_f64 v[60:61], v[118:119], s[8:9], v[195:196]
	v_fma_f64 v[195:196], v[118:119], s[14:15], -v[170:171]
	v_fma_f64 v[118:119], v[118:119], s[14:15], v[170:171]
	;; [unrolled: 2-line block ×3, first 2 shown]
	v_mul_f64_e32 v[110:111], s[20:21], v[74:75]
	v_add_f64_e32 v[138:139], v[138:139], v[162:163]
	v_add_f64_e32 v[186:187], v[186:187], v[211:212]
	;; [unrolled: 1-line block ×5, first 2 shown]
	v_mul_f64_e32 v[211:212], s[28:29], v[102:103]
	v_add_f64_e32 v[84:85], v[84:85], v[136:137]
	v_mul_f64_e32 v[162:163], s[30:31], v[102:103]
	v_mul_f64_e32 v[102:103], s[24:25], v[102:103]
	v_fma_f64 v[122:123], v[24:25], s[6:7], -v[124:125]
	v_add_f64_e32 v[56:57], v[168:169], v[56:57]
	v_add_f64_e32 v[112:113], v[112:113], v[128:129]
	;; [unrolled: 1-line block ×5, first 2 shown]
	v_mul_f64_e32 v[128:129], s[14:15], v[48:49]
	v_add_f64_e32 v[166:167], v[166:167], v[178:179]
	v_mul_f64_e32 v[142:143], s[26:27], v[100:101]
	v_add_f64_e32 v[174:175], v[203:204], v[174:175]
	v_add_f64_e32 v[176:177], v[176:177], v[215:216]
	v_mul_f64_e32 v[178:179], s[16:17], v[100:101]
	v_mul_f64_e32 v[164:165], s[8:9], v[48:49]
	v_add_f64_e32 v[184:185], v[199:200], v[184:185]
	v_mul_f64_e32 v[199:200], s[12:13], v[100:101]
	v_add_f64_e32 v[182:183], v[205:206], v[182:183]
	v_add_f64_e32 v[223:224], v[223:224], v[225:226]
	v_mul_f64_e32 v[205:206], s[36:37], v[100:101]
	v_mul_f64_e32 v[100:101], s[28:29], v[100:101]
	;; [unrolled: 1-line block ×3, first 2 shown]
	v_add_f64_e32 v[2:3], v[92:93], v[2:3]
	v_mul_f64_e32 v[215:216], s[22:23], v[28:29]
	v_mul_f64_e32 v[225:226], s[20:21], v[28:29]
	;; [unrolled: 1-line block ×4, first 2 shown]
	v_add_f64_e32 v[92:93], v[170:171], v[134:135]
	v_add_f64_e32 v[0:1], v[104:105], v[0:1]
	v_fma_f64 v[104:105], v[30:31], s[8:9], v[160:161]
	v_fma_f64 v[134:135], v[74:75], s[8:9], v[219:220]
	v_fma_f64 v[170:171], v[74:75], s[18:19], -v[231:232]
	v_add_f64_e32 v[78:79], v[110:111], v[78:79]
	v_fma_f64 v[110:111], v[30:31], s[6:7], v[132:133]
	v_add_f64_e32 v[138:139], v[154:155], v[138:139]
	v_add_f64_e32 v[172:173], v[172:173], v[186:187]
	v_add_f64_e32 v[90:91], v[90:91], v[126:127]
	v_add_f64_e32 v[88:89], v[88:89], v[140:141]
	v_add_f64_e64 v[50:51], v[50:51], -v[211:212]
	v_add_f64_e64 v[64:65], v[64:65], -v[162:163]
	v_fma_f64 v[106:107], v[24:25], s[18:19], v[102:103]
	v_add_f64_e32 v[58:59], v[112:113], v[58:59]
	v_add_f64_e32 v[82:83], v[108:109], v[82:83]
	v_fma_f64 v[108:109], v[74:75], s[8:9], -v[219:220]
	v_fma_f64 v[112:113], v[30:31], s[8:9], -v[160:161]
	v_fma_f64 v[160:161], v[30:31], s[18:19], v[227:228]
	v_fma_f64 v[30:31], v[30:31], s[6:7], -v[132:133]
	v_fma_f64 v[132:133], v[74:75], s[6:7], -v[114:115]
	v_fma_f64 v[74:75], v[74:75], s[6:7], v[114:115]
	v_add_f64_e32 v[114:115], v[207:208], v[166:167]
	v_add_f64_e32 v[166:167], v[239:240], v[174:175]
	;; [unrolled: 1-line block ×8, first 2 shown]
	v_add_f64_e64 v[66:67], v[66:67], -v[142:143]
	v_add_f64_e32 v[62:63], v[128:129], v[62:63]
	v_add_f64_e32 v[2:3], v[120:121], v[2:3]
	v_fma_f64 v[120:121], v[48:49], s[6:7], v[146:147]
	v_fma_f64 v[128:129], v[26:27], s[20:21], v[100:101]
	;; [unrolled: 1-line block ×3, first 2 shown]
	v_add_f64_e64 v[70:71], v[70:71], -v[178:179]
	v_add_f64_e32 v[68:69], v[164:165], v[68:69]
	v_fma_f64 v[142:143], v[48:49], s[20:21], -v[94:95]
	v_add_f64_e32 v[0:1], v[118:119], v[0:1]
	v_fma_f64 v[118:119], v[26:27], s[6:7], -v[199:200]
	v_add_f64_e64 v[76:77], v[76:77], -v[205:206]
	v_add_f64_e32 v[72:73], v[203:204], v[72:73]
	v_add_f64_e32 v[78:79], v[78:79], v[116:117]
	;; [unrolled: 1-line block ×5, first 2 shown]
	v_fma_f64 v[116:117], v[28:29], s[6:7], -v[235:236]
	v_fma_f64 v[102:103], v[24:25], s[18:19], -v[102:103]
	v_add_f64_e32 v[22:23], v[58:59], v[22:23]
	v_add_f64_e32 v[20:21], v[82:83], v[20:21]
	;; [unrolled: 1-line block ×3, first 2 shown]
	v_fma_f64 v[82:83], v[26:27], s[6:7], v[199:200]
	v_fma_f64 v[92:93], v[48:49], s[6:7], -v[146:147]
	v_fma_f64 v[146:147], v[26:27], s[22:23], v[209:210]
	v_fma_f64 v[26:27], v[26:27], s[20:21], -v[100:101]
	v_fma_f64 v[48:49], v[48:49], s[20:21], v[94:95]
	v_add_f64_e32 v[100:101], v[112:113], v[166:167]
	v_add_f64_e32 v[94:95], v[104:105], v[98:99]
	;; [unrolled: 1-line block ×11, first 2 shown]
	v_fma_f64 v[114:115], v[24:25], s[6:7], v[124:125]
	v_fma_f64 v[124:125], v[28:29], s[6:7], v[235:236]
	;; [unrolled: 1-line block ×3, first 2 shown]
	v_add_f64_e32 v[68:69], v[68:69], v[84:85]
	v_add_f64_e32 v[0:1], v[74:75], v[0:1]
	v_fma_f64 v[74:75], v[28:29], s[14:15], v[130:131]
	v_add_f64_e32 v[76:77], v[76:77], v[90:91]
	v_add_f64_e32 v[72:73], v[72:73], v[88:89]
	;; [unrolled: 1-line block ×7, first 2 shown]
	v_fma_f64 v[58:59], v[24:25], s[14:15], -v[156:157]
	v_fma_f64 v[34:35], v[28:29], s[14:15], -v[130:131]
	;; [unrolled: 1-line block ×3, first 2 shown]
	v_fma_f64 v[96:97], v[28:29], s[18:19], v[96:97]
	v_add_f64_e32 v[44:45], v[118:119], v[100:101]
	v_add_f64_e32 v[24:25], v[82:83], v[94:95]
	;; [unrolled: 1-line block ×15, first 2 shown]
	v_lshrrev_b32_e32 v36, 1, v188
	v_add_f64_e32 v[18:19], v[58:59], v[44:45]
	v_add_f64_e32 v[44:45], v[32:33], v[62:63]
	;; [unrolled: 1-line block ×15, first 2 shown]
	v_mul_u32_u24_e32 v36, 26, v36
	v_add_f64_e32 v[48:49], v[96:97], v[48:49]
	s_delay_alu instid0(VALU_DEP_2) | instskip(NEXT) | instid1(VALU_DEP_1)
	v_or_b32_e32 v36, v36, v192
	v_lshl_add_u32 v36, v36, 4, 0
	v_add_f64_e32 v[58:59], v[84:85], v[42:43]
	v_add_f64_e32 v[56:57], v[86:87], v[38:39]
	;; [unrolled: 1-line block ×3, first 2 shown]
	ds_store_b128 v36, v[8:11] offset:320
	ds_store_b128 v36, v[12:15] offset:352
	;; [unrolled: 1-line block ×10, first 2 shown]
	ds_store_b128 v36, v[56:59]
	ds_store_b128 v36, v[48:51] offset:32
	ds_store_b128 v36, v[38:41] offset:384
.LBB0_17:
	s_wait_alu 0xfffe
	s_or_b32 exec_lo, exec_lo, s1
	v_lshl_add_u32 v48, v188, 4, 0
	global_wb scope:SCOPE_SE
	s_wait_dscnt 0x0
	s_barrier_signal -1
	s_barrier_wait -1
	global_inv scope:SCOPE_SE
	ds_load_b128 v[16:19], v48
	ds_load_b128 v[0:3], v48 offset:1872
	ds_load_b128 v[36:39], v48 offset:12480
	ds_load_b128 v[24:27], v48 offset:14352
	ds_load_b128 v[44:47], v48 offset:6240
	ds_load_b128 v[20:23], v48 offset:3744
	ds_load_b128 v[40:43], v48 offset:8112
	ds_load_b128 v[28:31], v48 offset:9984
	ds_load_b128 v[32:35], v48 offset:16224
	v_cmp_gt_u32_e64 s0, 39, v188
	s_delay_alu instid0(VALU_DEP_1)
	s_and_saveexec_b32 s1, s0
	s_cbranch_execz .LBB0_19
; %bb.18:
	ds_load_b128 v[4:7], v48 offset:5616
	ds_load_b128 v[8:11], v48 offset:11856
	;; [unrolled: 1-line block ×3, first 2 shown]
.LBB0_19:
	s_wait_alu 0xfffe
	s_or_b32 exec_lo, exec_lo, s1
	v_and_b32_e32 v49, 0xff, v188
	v_and_b32_e32 v50, 0xff, v190
	;; [unrolled: 1-line block ×3, first 2 shown]
	s_mov_b32 s6, 0xe8584caa
	s_mov_b32 s7, 0xbfebb67a
	v_mul_lo_u16 v49, 0x4f, v49
	v_mul_lo_u16 v50, 0x4f, v50
	v_mul_u32_u24_e32 v51, 0x4ec5, v51
	s_mov_b32 s9, 0x3febb67a
	s_wait_alu 0xfffe
	s_mov_b32 s8, s6
	v_lshrrev_b16 v104, 11, v49
	v_and_b32_e32 v49, 0xffff, v189
	v_lshrrev_b16 v105, 11, v50
	v_lshrrev_b32_e32 v51, 19, v51
	s_delay_alu instid0(VALU_DEP_4) | instskip(NEXT) | instid1(VALU_DEP_4)
	v_mul_lo_u16 v50, v104, 26
	v_mul_u32_u24_e32 v49, 0x4ec5, v49
	s_delay_alu instid0(VALU_DEP_4) | instskip(NEXT) | instid1(VALU_DEP_4)
	v_mul_lo_u16 v56, v105, 26
	v_mul_lo_u16 v57, v51, 26
	v_mul_u32_u24_e32 v51, 0x4e0, v51
	v_sub_nc_u16 v50, v188, v50
	v_lshrrev_b32_e32 v49, 19, v49
	v_sub_nc_u16 v56, v190, v56
	v_sub_nc_u16 v57, v191, v57
	s_delay_alu instid0(VALU_DEP_4) | instskip(NEXT) | instid1(VALU_DEP_4)
	v_and_b32_e32 v106, 0xff, v50
	v_mul_lo_u16 v50, v49, 26
	s_delay_alu instid0(VALU_DEP_4) | instskip(NEXT) | instid1(VALU_DEP_4)
	v_and_b32_e32 v107, 0xff, v56
	v_and_b32_e32 v108, 0xffff, v57
	s_delay_alu instid0(VALU_DEP_4) | instskip(NEXT) | instid1(VALU_DEP_4)
	v_lshlrev_b32_e32 v60, 5, v106
	v_sub_nc_u16 v50, v189, v50
	s_delay_alu instid0(VALU_DEP_4) | instskip(NEXT) | instid1(VALU_DEP_4)
	v_lshlrev_b32_e32 v68, 5, v107
	v_lshlrev_b32_e32 v76, 5, v108
	s_clause 0x1
	global_load_b128 v[56:59], v60, s[4:5] offset:384
	global_load_b128 v[60:63], v60, s[4:5] offset:400
	v_and_b32_e32 v50, 0xffff, v50
	s_clause 0x1
	global_load_b128 v[64:67], v68, s[4:5] offset:384
	global_load_b128 v[68:71], v68, s[4:5] offset:400
	v_lshlrev_b32_e32 v84, 5, v50
	s_clause 0x3
	global_load_b128 v[72:75], v76, s[4:5] offset:384
	global_load_b128 v[76:79], v76, s[4:5] offset:400
	;; [unrolled: 1-line block ×4, first 2 shown]
	global_wb scope:SCOPE_SE
	s_wait_loadcnt_dscnt 0x0
	s_barrier_signal -1
	s_barrier_wait -1
	global_inv scope:SCOPE_SE
	v_mul_f64_e32 v[88:89], v[46:47], v[58:59]
	v_mul_f64_e32 v[90:91], v[38:39], v[62:63]
	;; [unrolled: 1-line block ×16, first 2 shown]
	v_fma_f64 v[44:45], v[44:45], v[56:57], v[88:89]
	v_fma_f64 v[36:37], v[36:37], v[60:61], v[90:91]
	v_fma_f64 v[46:47], v[46:47], v[56:57], -v[58:59]
	v_fma_f64 v[38:39], v[38:39], v[60:61], -v[62:63]
	v_fma_f64 v[40:41], v[40:41], v[64:65], v[92:93]
	v_fma_f64 v[56:57], v[24:25], v[68:69], v[94:95]
	v_fma_f64 v[42:43], v[42:43], v[64:65], -v[66:67]
	v_fma_f64 v[58:59], v[26:27], v[68:69], -v[70:71]
	v_fma_f64 v[28:29], v[28:29], v[72:73], v[96:97]
	v_fma_f64 v[24:25], v[8:9], v[80:81], v[100:101]
	;; [unrolled: 1-line block ×3, first 2 shown]
	v_fma_f64 v[26:27], v[10:11], v[80:81], -v[82:83]
	v_fma_f64 v[14:15], v[14:15], v[84:85], -v[86:87]
	v_fma_f64 v[32:33], v[32:33], v[76:77], v[98:99]
	v_fma_f64 v[30:31], v[30:31], v[72:73], -v[74:75]
	v_fma_f64 v[34:35], v[34:35], v[76:77], -v[78:79]
	v_add_f64_e32 v[72:73], v[16:17], v[44:45]
	v_add_f64_e32 v[8:9], v[44:45], v[36:37]
	v_add_f64_e64 v[44:45], v[44:45], -v[36:37]
	v_add_f64_e32 v[10:11], v[46:47], v[38:39]
	v_add_f64_e64 v[74:75], v[46:47], -v[38:39]
	v_add_f64_e32 v[60:61], v[40:41], v[56:57]
	v_add_f64_e32 v[46:47], v[18:19], v[46:47]
	;; [unrolled: 1-line block ×11, first 2 shown]
	v_add_f64_e64 v[42:43], v[42:43], -v[58:59]
	v_add_f64_e64 v[86:87], v[26:27], -v[14:15]
	;; [unrolled: 1-line block ×4, first 2 shown]
	v_fma_f64 v[8:9], v[8:9], -0.5, v[16:17]
	v_add_f64_e32 v[16:17], v[72:73], v[36:37]
	v_fma_f64 v[10:11], v[10:11], -0.5, v[18:19]
	v_fma_f64 v[0:1], v[60:61], -0.5, v[0:1]
	v_add_f64_e64 v[60:61], v[40:41], -v[56:57]
	v_fma_f64 v[2:3], v[62:63], -0.5, v[2:3]
	v_add_f64_e64 v[62:63], v[30:31], -v[34:35]
	v_add_f64_e32 v[18:19], v[46:47], v[38:39]
	v_fma_f64 v[68:69], v[68:69], -0.5, v[4:5]
	v_add_f64_e32 v[28:29], v[80:81], v[32:33]
	v_fma_f64 v[70:71], v[70:71], -0.5, v[6:7]
	v_fma_f64 v[64:65], v[64:65], -0.5, v[20:21]
	v_add_f64_e32 v[30:31], v[82:83], v[34:35]
	v_fma_f64 v[66:67], v[66:67], -0.5, v[22:23]
	v_add_f64_e32 v[20:21], v[76:77], v[56:57]
	v_add_f64_e32 v[22:23], v[78:79], v[58:59]
	v_fma_f64 v[32:33], v[74:75], s[6:7], v[8:9]
	s_wait_alu 0xfffe
	v_fma_f64 v[36:37], v[74:75], s[8:9], v[8:9]
	v_fma_f64 v[34:35], v[44:45], s[8:9], v[10:11]
	;; [unrolled: 1-line block ×15, first 2 shown]
	v_and_b32_e32 v64, 0xffff, v104
	v_and_b32_e32 v65, 0xffff, v105
	v_lshlrev_b32_e32 v66, 4, v106
	v_lshlrev_b32_e32 v67, 4, v107
	;; [unrolled: 1-line block ×3, first 2 shown]
	v_mul_u32_u24_e32 v64, 0x4e0, v64
	v_mul_u32_u24_e32 v65, 0x4e0, v65
	s_delay_alu instid0(VALU_DEP_3) | instskip(NEXT) | instid1(VALU_DEP_3)
	v_add3_u32 v51, 0, v51, v68
	v_add3_u32 v64, 0, v64, v66
	s_delay_alu instid0(VALU_DEP_3)
	v_add3_u32 v65, 0, v65, v67
	ds_store_b128 v64, v[16:19]
	ds_store_b128 v64, v[32:35] offset:416
	ds_store_b128 v64, v[36:39] offset:832
	ds_store_b128 v65, v[20:23]
	ds_store_b128 v65, v[40:43] offset:416
	ds_store_b128 v65, v[44:47] offset:832
	;; [unrolled: 3-line block ×3, first 2 shown]
	s_and_saveexec_b32 s1, s0
	s_cbranch_execz .LBB0_21
; %bb.20:
	v_add_f64_e32 v[6:7], v[6:7], v[26:27]
	v_add_f64_e32 v[4:5], v[4:5], v[24:25]
	s_delay_alu instid0(VALU_DEP_2) | instskip(NEXT) | instid1(VALU_DEP_2)
	v_add_f64_e32 v[6:7], v[6:7], v[14:15]
	v_add_f64_e32 v[4:5], v[4:5], v[12:13]
	v_mul_lo_u16 v12, 0x4e, v49
	v_lshlrev_b32_e32 v13, 4, v50
	s_delay_alu instid0(VALU_DEP_2) | instskip(NEXT) | instid1(VALU_DEP_1)
	v_and_b32_e32 v12, 0xffff, v12
	v_lshlrev_b32_e32 v12, 4, v12
	s_delay_alu instid0(VALU_DEP_1)
	v_add3_u32 v12, 0, v13, v12
	ds_store_b128 v12, v[4:7]
	ds_store_b128 v12, v[0:3] offset:416
	ds_store_b128 v12, v[8:11] offset:832
.LBB0_21:
	s_wait_alu 0xfffe
	s_or_b32 exec_lo, exec_lo, s1
	v_lshrrev_b16 v4, 1, v190
	v_add_nc_u32_e32 v5, 0xffffffb2, v188
	v_cmp_gt_u32_e64 s1, 0x4e, v188
	global_wb scope:SCOPE_SE
	s_wait_dscnt 0x0
	s_barrier_signal -1
	v_and_b32_e32 v4, 0x7f, v4
	s_barrier_wait -1
	s_wait_alu 0xf1ff
	v_cndmask_b32_e64 v51, v5, v188, s1
	v_mov_b32_e32 v5, 0
	global_inv scope:SCOPE_SE
	v_mul_lo_u16 v4, 0xd3, v4
	s_mov_b32 s6, 0x134454ff
	s_mov_b32 s7, 0xbfee6f0e
	s_mov_b32 s9, 0x3fee6f0e
	s_wait_alu 0xfffe
	s_mov_b32 s8, s6
	v_lshrrev_b16 v118, 13, v4
	v_lshlrev_b32_e32 v4, 2, v51
	s_delay_alu instid0(VALU_DEP_2) | instskip(NEXT) | instid1(VALU_DEP_2)
	v_mul_lo_u16 v6, 0x4e, v118
	v_lshlrev_b64_e32 v[4:5], 4, v[4:5]
	s_delay_alu instid0(VALU_DEP_2) | instskip(NEXT) | instid1(VALU_DEP_2)
	v_sub_nc_u16 v6, v190, v6
	v_add_co_u32 v20, s1, s4, v4
	s_wait_alu 0xf1ff
	s_delay_alu instid0(VALU_DEP_3) | instskip(NEXT) | instid1(VALU_DEP_3)
	v_add_co_ci_u32_e64 v21, s1, s5, v5, s1
	v_and_b32_e32 v119, 0xff, v6
	v_cmp_lt_u32_e64 s1, 0x4d, v188
	s_clause 0x2
	global_load_b128 v[4:7], v[20:21], off offset:1216
	global_load_b128 v[12:15], v[20:21], off offset:1232
	global_load_b128 v[16:19], v[20:21], off offset:1248
	v_lshlrev_b32_e32 v36, 6, v119
	s_clause 0x4
	global_load_b128 v[20:23], v[20:21], off offset:1264
	global_load_b128 v[24:27], v36, s[4:5] offset:1216
	global_load_b128 v[28:31], v36, s[4:5] offset:1232
	;; [unrolled: 1-line block ×4, first 2 shown]
	ds_load_b128 v[40:43], v48 offset:3744
	ds_load_b128 v[44:47], v48 offset:7488
	ds_load_b128 v[56:59], v48 offset:11232
	ds_load_b128 v[60:63], v48 offset:14976
	ds_load_b128 v[64:67], v48 offset:5616
	ds_load_b128 v[68:71], v48 offset:9360
	ds_load_b128 v[72:75], v48 offset:13104
	ds_load_b128 v[76:79], v48 offset:16848
	s_wait_loadcnt_dscnt 0x707
	v_mul_f64_e32 v[49:50], v[42:43], v[6:7]
	s_wait_loadcnt_dscnt 0x606
	v_mul_f64_e32 v[80:81], v[46:47], v[14:15]
	;; [unrolled: 2-line block ×3, first 2 shown]
	v_mul_f64_e32 v[14:15], v[44:45], v[14:15]
	v_mul_f64_e32 v[18:19], v[56:57], v[18:19]
	;; [unrolled: 1-line block ×3, first 2 shown]
	s_wait_loadcnt_dscnt 0x404
	v_mul_f64_e32 v[84:85], v[62:63], v[22:23]
	v_mul_f64_e32 v[22:23], v[60:61], v[22:23]
	s_wait_loadcnt_dscnt 0x202
	v_mul_f64_e32 v[88:89], v[70:71], v[30:31]
	s_wait_loadcnt_dscnt 0x101
	v_mul_f64_e32 v[90:91], v[74:75], v[34:35]
	v_mul_f64_e32 v[30:31], v[68:69], v[30:31]
	;; [unrolled: 1-line block ×4, first 2 shown]
	s_wait_loadcnt_dscnt 0x0
	v_mul_f64_e32 v[92:93], v[78:79], v[38:39]
	v_mul_f64_e32 v[26:27], v[64:65], v[26:27]
	;; [unrolled: 1-line block ×3, first 2 shown]
	v_fma_f64 v[40:41], v[40:41], v[4:5], v[49:50]
	v_fma_f64 v[44:45], v[44:45], v[12:13], v[80:81]
	;; [unrolled: 1-line block ×3, first 2 shown]
	v_fma_f64 v[46:47], v[46:47], v[12:13], -v[14:15]
	v_fma_f64 v[16:17], v[58:59], v[16:17], -v[18:19]
	v_fma_f64 v[42:43], v[42:43], v[4:5], -v[6:7]
	v_fma_f64 v[56:57], v[60:61], v[20:21], v[84:85]
	v_fma_f64 v[18:19], v[62:63], v[20:21], -v[22:23]
	v_fma_f64 v[22:23], v[68:69], v[28:29], v[88:89]
	v_fma_f64 v[58:59], v[72:73], v[32:33], v[90:91]
	v_fma_f64 v[28:29], v[70:71], v[28:29], -v[30:31]
	v_fma_f64 v[32:33], v[74:75], v[32:33], -v[34:35]
	v_fma_f64 v[20:21], v[64:65], v[24:25], v[86:87]
	v_fma_f64 v[30:31], v[76:77], v[36:37], v[92:93]
	v_fma_f64 v[24:25], v[66:67], v[24:25], -v[26:27]
	v_fma_f64 v[26:27], v[78:79], v[36:37], -v[38:39]
	ds_load_b128 v[4:7], v48
	ds_load_b128 v[12:15], v48 offset:1872
	global_wb scope:SCOPE_SE
	s_wait_dscnt 0x0
	s_barrier_signal -1
	s_barrier_wait -1
	global_inv scope:SCOPE_SE
	v_add_f64_e32 v[70:71], v[4:5], v[40:41]
	v_add_f64_e32 v[34:35], v[44:45], v[49:50]
	;; [unrolled: 1-line block ×6, first 2 shown]
	v_add_f64_e64 v[72:73], v[42:43], -v[18:19]
	v_add_f64_e32 v[62:63], v[22:23], v[58:59]
	v_add_f64_e64 v[82:83], v[40:41], -v[56:57]
	v_add_f64_e32 v[66:67], v[28:29], v[32:33]
	v_add_f64_e32 v[78:79], v[12:13], v[20:21]
	v_add_f64_e32 v[64:65], v[20:21], v[30:31]
	v_add_f64_e32 v[80:81], v[14:15], v[24:25]
	v_add_f64_e32 v[68:69], v[24:25], v[26:27]
	v_add_f64_e64 v[74:75], v[46:47], -v[16:17]
	v_add_f64_e64 v[84:85], v[24:25], -v[26:27]
	;; [unrolled: 1-line block ×17, first 2 shown]
	v_fma_f64 v[34:35], v[34:35], -0.5, v[4:5]
	v_fma_f64 v[38:39], v[38:39], -0.5, v[6:7]
	v_add_f64_e32 v[46:47], v[76:77], v[46:47]
	v_fma_f64 v[4:5], v[36:37], -0.5, v[4:5]
	v_add_f64_e64 v[36:37], v[44:45], -v[49:50]
	v_fma_f64 v[6:7], v[60:61], -0.5, v[6:7]
	v_fma_f64 v[62:63], v[62:63], -0.5, v[12:13]
	v_add_f64_e64 v[60:61], v[28:29], -v[32:33]
	v_fma_f64 v[66:67], v[66:67], -0.5, v[14:15]
	;; [unrolled: 3-line block ×3, first 2 shown]
	v_add_f64_e64 v[68:69], v[40:41], -v[44:45]
	v_add_f64_e64 v[40:41], v[44:45], -v[40:41]
	v_add_f64_e32 v[44:45], v[70:71], v[44:45]
	v_add_f64_e32 v[22:23], v[78:79], v[22:23]
	;; [unrolled: 1-line block ×5, first 2 shown]
	v_fma_f64 v[70:71], v[72:73], s[6:7], v[34:35]
	s_wait_alu 0xfffe
	v_fma_f64 v[34:35], v[72:73], s[8:9], v[34:35]
	v_fma_f64 v[78:79], v[82:83], s[8:9], v[38:39]
	;; [unrolled: 1-line block ×15, first 2 shown]
	s_mov_b32 s6, 0x4755a5e
	s_mov_b32 s7, 0xbfe2cf23
	;; [unrolled: 1-line block ×3, first 2 shown]
	s_wait_alu 0xfffe
	s_mov_b32 s8, s6
	v_add_f64_e32 v[68:69], v[68:69], v[88:89]
	v_add_f64_e32 v[88:89], v[92:93], v[94:95]
	;; [unrolled: 1-line block ×10, first 2 shown]
	v_fma_f64 v[28:29], v[74:75], s[6:7], v[70:71]
	s_wait_alu 0xfffe
	v_fma_f64 v[32:33], v[74:75], s[8:9], v[34:35]
	v_fma_f64 v[44:45], v[36:37], s[8:9], v[78:79]
	;; [unrolled: 1-line block ×15, first 2 shown]
	s_mov_b32 s6, 0x372fe950
	s_mov_b32 s7, 0x3fd3c6ef
	v_add_f64_e32 v[12:13], v[20:21], v[56:57]
	v_add_f64_e32 v[14:15], v[16:17], v[18:19]
	;; [unrolled: 1-line block ×4, first 2 shown]
	s_wait_alu 0xfffe
	v_fma_f64 v[20:21], v[68:69], s[6:7], v[28:29]
	v_fma_f64 v[24:25], v[68:69], s[6:7], v[32:33]
	;; [unrolled: 1-line block ×16, first 2 shown]
	v_cndmask_b32_e64 v49, 0, 0x1860, s1
	v_lshlrev_b32_e32 v50, 4, v51
	v_and_b32_e32 v51, 0xffff, v118
	s_delay_alu instid0(VALU_DEP_2) | instskip(NEXT) | instid1(VALU_DEP_2)
	v_add3_u32 v49, 0, v49, v50
	v_mul_u32_u24_e32 v50, 0x1860, v51
	v_lshlrev_b32_e32 v51, 4, v119
	s_delay_alu instid0(VALU_DEP_1)
	v_add3_u32 v50, 0, v50, v51
	ds_store_b128 v49, v[12:15]
	ds_store_b128 v49, v[20:23] offset:1248
	ds_store_b128 v49, v[28:31] offset:2496
	;; [unrolled: 1-line block ×4, first 2 shown]
	ds_store_b128 v50, v[16:19]
	ds_store_b128 v50, v[36:39] offset:1248
	ds_store_b128 v50, v[40:43] offset:2496
	;; [unrolled: 1-line block ×4, first 2 shown]
	global_wb scope:SCOPE_SE
	s_wait_dscnt 0x0
	s_barrier_signal -1
	s_barrier_wait -1
	global_inv scope:SCOPE_SE
	ds_load_b128 v[12:15], v48
	ds_load_b128 v[16:19], v48 offset:1872
	ds_load_b128 v[28:31], v48 offset:12480
	;; [unrolled: 1-line block ×8, first 2 shown]
	s_and_saveexec_b32 s1, s0
	s_cbranch_execz .LBB0_23
; %bb.22:
	ds_load_b128 v[4:7], v48 offset:5616
	ds_load_b128 v[0:3], v48 offset:11856
	;; [unrolled: 1-line block ×3, first 2 shown]
.LBB0_23:
	s_wait_alu 0xfffe
	s_or_b32 exec_lo, exec_lo, s1
	s_and_saveexec_b32 s1, vcc_lo
	s_cbranch_execz .LBB0_26
; %bb.24:
	v_dual_mov_b32 v49, 0 :: v_dual_lshlrev_b32 v48, 1, v191
	v_lshlrev_b32_e32 v50, 1, v188
	v_lshlrev_b32_e32 v56, 1, v190
	v_lshlrev_b64_e32 v[52:53], 4, v[52:53]
	s_delay_alu instid0(VALU_DEP_4)
	v_mov_b32_e32 v51, v49
	v_mov_b32_e32 v57, v49
	v_lshlrev_b64_e32 v[58:59], 4, v[48:49]
	v_mul_lo_u32 v48, s2, v55
	s_mov_b32 s7, 0x3febb67a
	v_lshlrev_b64_e32 v[50:51], 4, v[50:51]
	v_lshlrev_b64_e32 v[56:57], 4, v[56:57]
	s_delay_alu instid0(VALU_DEP_4) | instskip(SKIP_2) | instid1(VALU_DEP_3)
	v_add_co_u32 v60, vcc_lo, s4, v58
	s_wait_alu 0xfffd
	v_add_co_ci_u32_e32 v61, vcc_lo, s5, v59, vcc_lo
	v_add_co_u32 v68, vcc_lo, s4, v56
	s_wait_alu 0xfffd
	v_add_co_ci_u32_e32 v69, vcc_lo, s5, v57, vcc_lo
	;; [unrolled: 3-line block ×3, first 2 shown]
	s_clause 0x5
	global_load_b128 v[56:59], v[60:61], off offset:6208
	global_load_b128 v[60:63], v[60:61], off offset:6224
	;; [unrolled: 1-line block ×6, first 2 shown]
	s_wait_loadcnt_dscnt 0x501
	v_mul_f64_e32 v[50:51], v[44:45], v[58:59]
	s_wait_loadcnt_dscnt 0x400
	v_mul_f64_e32 v[80:81], v[36:37], v[62:63]
	s_wait_loadcnt 0x3
	v_mul_f64_e32 v[82:83], v[32:33], v[66:67]
	s_wait_loadcnt 0x2
	;; [unrolled: 2-line block ×4, first 2 shown]
	v_mul_f64_e32 v[88:89], v[28:29], v[78:79]
	v_mul_f64_e32 v[74:75], v[42:43], v[74:75]
	;; [unrolled: 1-line block ×7, first 2 shown]
	v_fma_f64 v[46:47], v[46:47], v[56:57], -v[50:51]
	v_fma_f64 v[38:39], v[38:39], v[60:61], -v[80:81]
	;; [unrolled: 1-line block ×6, first 2 shown]
	v_fma_f64 v[40:41], v[40:41], v[72:73], v[74:75]
	v_fma_f64 v[50:51], v[28:29], v[76:77], v[78:79]
	;; [unrolled: 1-line block ×6, first 2 shown]
	v_add_nc_u32_e32 v70, 0x75, v188
	v_add_nc_u32_e32 v86, 0xea, v188
	v_mul_lo_u32 v25, s3, v54
	v_mad_co_u64_u32 v[54:55], null, s2, v54, 0
	s_delay_alu instid0(VALU_DEP_4)
	v_lshrrev_b32_e32 v24, 1, v70
	v_lshrrev_b32_e32 v68, 1, v188
	;; [unrolled: 1-line block ×3, first 2 shown]
	s_mov_b32 s2, 0xe8584caa
	s_mov_b32 s3, 0xbfebb67a
	v_mul_hi_u32 v69, 0xa80a80a9, v24
	v_mul_hi_u32 v71, 0xa80a80a9, v68
	;; [unrolled: 1-line block ×3, first 2 shown]
	v_add3_u32 v55, v55, v48, v25
	s_wait_alu 0xfffe
	s_mov_b32 s6, s2
	v_add_nc_u32_e32 v24, 0x15f, v188
	v_lshrrev_b32_e32 v87, 7, v69
	v_mov_b32_e32 v69, v49
	v_lshrrev_b32_e32 v25, 7, v71
	v_lshrrev_b32_e32 v92, 7, v72
	v_lshlrev_b64_e32 v[54:55], 4, v[54:55]
	v_mul_u32_u24_e32 v48, 0x186, v87
	v_cmp_gt_u32_e32 vcc_lo, 0x186, v24
	v_mul_u32_u24_e32 v25, 0x186, v25
	v_add_f64_e32 v[72:73], v[22:23], v[46:47]
	v_add_f64_e32 v[56:57], v[46:47], v[38:39]
	v_sub_nc_u32_e32 v48, v70, v48
	v_add_f64_e32 v[58:59], v[34:35], v[26:27]
	v_add_f64_e32 v[76:77], v[18:19], v[34:35]
	;; [unrolled: 1-line block ×5, first 2 shown]
	v_add_f64_e64 v[78:79], v[40:41], -v[50:51]
	v_add_f64_e32 v[40:41], v[12:13], v[40:41]
	v_add_f64_e32 v[64:65], v[32:33], v[44:45]
	;; [unrolled: 1-line block ×3, first 2 shown]
	v_add_f64_e64 v[70:71], v[28:29], -v[36:37]
	v_add_f64_e32 v[28:29], v[20:21], v[28:29]
	v_add_f64_e64 v[74:75], v[32:33], -v[44:45]
	v_add_f64_e32 v[32:33], v[16:17], v[32:33]
	v_add_f64_e64 v[82:83], v[34:35], -v[26:27]
	v_add_f64_e64 v[46:47], v[46:47], -v[38:39]
	v_mad_u32_u24 v48, 0x492, v87, v48
	v_mov_b32_e32 v68, v49
	v_fma_f64 v[22:23], v[56:57], -0.5, v[22:23]
	v_fma_f64 v[56:57], v[58:59], -0.5, v[18:19]
	;; [unrolled: 1-line block ×3, first 2 shown]
	v_add_f64_e64 v[60:61], v[42:43], -v[30:31]
	v_fma_f64 v[62:63], v[62:63], -0.5, v[12:13]
	v_add_co_u32 v12, s1, s10, v54
	v_fma_f64 v[64:65], v[64:65], -0.5, v[16:17]
	v_fma_f64 v[84:85], v[66:67], -0.5, v[20:21]
	v_add_nc_u32_e32 v67, 0x186, v48
	v_sub_nc_u32_e32 v14, v188, v25
	v_mul_u32_u24_e32 v15, 0x186, v92
	s_wait_alu 0xf1ff
	v_add_co_ci_u32_e64 v13, s1, s11, v55, s1
	v_add_co_u32 v12, s1, v12, v52
	v_lshlrev_b32_e32 v14, 4, v14
	v_sub_nc_u32_e32 v15, v86, v15
	v_lshlrev_b64_e32 v[86:87], 4, v[48:49]
	v_add_nc_u32_e32 v48, 0x30c, v48
	s_wait_alu 0xf1ff
	v_add_co_ci_u32_e64 v13, s1, v13, v53, s1
	v_add_co_u32 v88, s1, v12, v14
	s_delay_alu instid0(VALU_DEP_3)
	v_lshlrev_b64_e32 v[90:91], 4, v[48:49]
	v_mad_u32_u24 v48, 0x492, v92, v15
	v_add_f64_e32 v[14:15], v[28:29], v[36:37]
	v_add_f64_e32 v[20:21], v[76:77], v[26:27]
	;; [unrolled: 1-line block ×6, first 2 shown]
	v_lshlrev_b64_e32 v[66:67], 4, v[67:68]
	s_wait_alu 0xf1ff
	v_add_co_ci_u32_e64 v89, s1, 0, v13, s1
	v_add_nc_u32_e32 v68, 0x186, v48
	v_fma_f64 v[31:32], v[70:71], s[2:3], v[22:23]
	s_wait_alu 0xfffe
	v_fma_f64 v[52:53], v[74:75], s[6:7], v[56:57]
	v_fma_f64 v[35:36], v[74:75], s[2:3], v[56:57]
	v_fma_f64 v[43:44], v[78:79], s[6:7], v[58:59]
	v_fma_f64 v[39:40], v[78:79], s[2:3], v[58:59]
	v_fma_f64 v[41:42], v[60:61], s[2:3], v[62:63]
	v_fma_f64 v[37:38], v[60:61], s[6:7], v[62:63]
	v_fma_f64 v[56:57], v[70:71], s[6:7], v[22:23]
	v_fma_f64 v[50:51], v[82:83], s[2:3], v[64:65]
	v_fma_f64 v[33:34], v[82:83], s[6:7], v[64:65]
	v_fma_f64 v[54:55], v[46:47], s[2:3], v[84:85]
	v_fma_f64 v[29:30], v[46:47], s[6:7], v[84:85]
	v_add_co_u32 v22, s1, v12, v86
	s_wait_alu 0xf1ff
	v_add_co_ci_u32_e64 v23, s1, v13, v87, s1
	v_lshlrev_b64_e32 v[45:46], 4, v[48:49]
	v_add_co_u32 v58, s1, v12, v66
	v_add_nc_u32_e32 v48, 0x30c, v48
	s_wait_alu 0xf1ff
	v_add_co_ci_u32_e64 v59, s1, v13, v67, s1
	v_add_co_u32 v60, s1, v12, v90
	v_lshlrev_b64_e32 v[62:63], 4, v[68:69]
	s_wait_alu 0xf1ff
	v_add_co_ci_u32_e64 v61, s1, v13, v91, s1
	v_lshlrev_b64_e32 v[47:48], 4, v[48:49]
	v_add_co_u32 v45, s1, v12, v45
	s_wait_alu 0xf1ff
	v_add_co_ci_u32_e64 v46, s1, v13, v46, s1
	v_add_co_u32 v62, s1, v12, v62
	s_wait_alu 0xf1ff
	v_add_co_ci_u32_e64 v63, s1, v13, v63, s1
	v_add_co_u32 v47, s1, v12, v47
	s_wait_alu 0xf1ff
	v_add_co_ci_u32_e64 v48, s1, v13, v48, s1
	s_clause 0x8
	global_store_b128 v[88:89], v[25:28], off
	global_store_b128 v[88:89], v[41:44], off offset:6240
	global_store_b128 v[88:89], v[37:40], off offset:12480
	global_store_b128 v[22:23], v[18:21], off
	global_store_b128 v[58:59], v[50:53], off
	;; [unrolled: 1-line block ×6, first 2 shown]
	s_and_b32 exec_lo, exec_lo, vcc_lo
	s_cbranch_execz .LBB0_26
; %bb.25:
	v_subrev_nc_u32_e32 v14, 39, v188
	s_delay_alu instid0(VALU_DEP_1) | instskip(NEXT) | instid1(VALU_DEP_1)
	v_cndmask_b32_e64 v14, v14, v189, s0
	v_lshlrev_b32_e32 v48, 1, v14
	s_delay_alu instid0(VALU_DEP_1) | instskip(SKIP_1) | instid1(VALU_DEP_2)
	v_lshlrev_b64_e32 v[14:15], 4, v[48:49]
	v_add_nc_u32_e32 v48, 0x2e5, v188
	v_add_co_u32 v18, vcc_lo, s4, v14
	s_wait_alu 0xfffd
	s_delay_alu instid0(VALU_DEP_3)
	v_add_co_ci_u32_e32 v19, vcc_lo, s5, v15, vcc_lo
	s_clause 0x1
	global_load_b128 v[14:17], v[18:19], off offset:6208
	global_load_b128 v[18:21], v[18:19], off offset:6224
	s_wait_loadcnt 0x1
	v_mul_f64_e32 v[22:23], v[2:3], v[16:17]
	s_wait_loadcnt 0x0
	v_mul_f64_e32 v[25:26], v[10:11], v[20:21]
	v_mul_f64_e32 v[16:17], v[0:1], v[16:17]
	;; [unrolled: 1-line block ×3, first 2 shown]
	s_delay_alu instid0(VALU_DEP_4) | instskip(NEXT) | instid1(VALU_DEP_4)
	v_fma_f64 v[0:1], v[0:1], v[14:15], v[22:23]
	v_fma_f64 v[8:9], v[8:9], v[18:19], v[25:26]
	v_mov_b32_e32 v25, v49
	v_fma_f64 v[2:3], v[2:3], v[14:15], -v[16:17]
	v_fma_f64 v[10:11], v[10:11], v[18:19], -v[20:21]
	v_add_f64_e32 v[18:19], v[4:5], v[0:1]
	v_add_f64_e32 v[14:15], v[0:1], v[8:9]
	v_add_f64_e64 v[22:23], v[0:1], -v[8:9]
	s_delay_alu instid0(VALU_DEP_4)
	v_add_f64_e32 v[16:17], v[2:3], v[10:11]
	v_add_f64_e64 v[20:21], v[2:3], -v[10:11]
	v_add_f64_e32 v[2:3], v[6:7], v[2:3]
	v_add_f64_e32 v[0:1], v[18:19], v[8:9]
	v_fma_f64 v[14:15], v[14:15], -0.5, v[4:5]
	v_fma_f64 v[16:17], v[16:17], -0.5, v[6:7]
	s_delay_alu instid0(VALU_DEP_4) | instskip(NEXT) | instid1(VALU_DEP_3)
	v_add_f64_e32 v[2:3], v[2:3], v[10:11]
	v_fma_f64 v[4:5], v[20:21], s[2:3], v[14:15]
	v_fma_f64 v[8:9], v[20:21], s[6:7], v[14:15]
	v_lshlrev_b64_e32 v[14:15], 4, v[24:25]
	v_fma_f64 v[6:7], v[22:23], s[6:7], v[16:17]
	v_fma_f64 v[10:11], v[22:23], s[2:3], v[16:17]
	v_lshlrev_b64_e32 v[16:17], 4, v[48:49]
	v_add_nc_u32_e32 v48, 0x46b, v188
	v_add_co_u32 v14, vcc_lo, v12, v14
	s_wait_alu 0xfffd
	v_add_co_ci_u32_e32 v15, vcc_lo, v13, v15, vcc_lo
	s_delay_alu instid0(VALU_DEP_3) | instskip(SKIP_3) | instid1(VALU_DEP_3)
	v_lshlrev_b64_e32 v[18:19], 4, v[48:49]
	v_add_co_u32 v16, vcc_lo, v12, v16
	s_wait_alu 0xfffd
	v_add_co_ci_u32_e32 v17, vcc_lo, v13, v17, vcc_lo
	v_add_co_u32 v12, vcc_lo, v12, v18
	s_wait_alu 0xfffd
	v_add_co_ci_u32_e32 v13, vcc_lo, v13, v19, vcc_lo
	s_clause 0x2
	global_store_b128 v[14:15], v[0:3], off
	global_store_b128 v[16:17], v[4:7], off
	;; [unrolled: 1-line block ×3, first 2 shown]
.LBB0_26:
	s_nop 0
	s_sendmsg sendmsg(MSG_DEALLOC_VGPRS)
	s_endpgm
	.section	.rodata,"a",@progbits
	.p2align	6, 0x0
	.amdhsa_kernel fft_rtc_back_len1170_factors_2_13_3_5_3_wgs_117_tpt_117_dp_op_CI_CI_unitstride_sbrr_dirReg
		.amdhsa_group_segment_fixed_size 0
		.amdhsa_private_segment_fixed_size 0
		.amdhsa_kernarg_size 104
		.amdhsa_user_sgpr_count 2
		.amdhsa_user_sgpr_dispatch_ptr 0
		.amdhsa_user_sgpr_queue_ptr 0
		.amdhsa_user_sgpr_kernarg_segment_ptr 1
		.amdhsa_user_sgpr_dispatch_id 0
		.amdhsa_user_sgpr_private_segment_size 0
		.amdhsa_wavefront_size32 1
		.amdhsa_uses_dynamic_stack 0
		.amdhsa_enable_private_segment 0
		.amdhsa_system_sgpr_workgroup_id_x 1
		.amdhsa_system_sgpr_workgroup_id_y 0
		.amdhsa_system_sgpr_workgroup_id_z 0
		.amdhsa_system_sgpr_workgroup_info 0
		.amdhsa_system_vgpr_workitem_id 0
		.amdhsa_next_free_vgpr 243
		.amdhsa_next_free_sgpr 44
		.amdhsa_reserve_vcc 1
		.amdhsa_float_round_mode_32 0
		.amdhsa_float_round_mode_16_64 0
		.amdhsa_float_denorm_mode_32 3
		.amdhsa_float_denorm_mode_16_64 3
		.amdhsa_fp16_overflow 0
		.amdhsa_workgroup_processor_mode 1
		.amdhsa_memory_ordered 1
		.amdhsa_forward_progress 0
		.amdhsa_round_robin_scheduling 0
		.amdhsa_exception_fp_ieee_invalid_op 0
		.amdhsa_exception_fp_denorm_src 0
		.amdhsa_exception_fp_ieee_div_zero 0
		.amdhsa_exception_fp_ieee_overflow 0
		.amdhsa_exception_fp_ieee_underflow 0
		.amdhsa_exception_fp_ieee_inexact 0
		.amdhsa_exception_int_div_zero 0
	.end_amdhsa_kernel
	.text
.Lfunc_end0:
	.size	fft_rtc_back_len1170_factors_2_13_3_5_3_wgs_117_tpt_117_dp_op_CI_CI_unitstride_sbrr_dirReg, .Lfunc_end0-fft_rtc_back_len1170_factors_2_13_3_5_3_wgs_117_tpt_117_dp_op_CI_CI_unitstride_sbrr_dirReg
                                        ; -- End function
	.section	.AMDGPU.csdata,"",@progbits
; Kernel info:
; codeLenInByte = 10064
; NumSgprs: 46
; NumVgprs: 243
; ScratchSize: 0
; MemoryBound: 1
; FloatMode: 240
; IeeeMode: 1
; LDSByteSize: 0 bytes/workgroup (compile time only)
; SGPRBlocks: 5
; VGPRBlocks: 30
; NumSGPRsForWavesPerEU: 46
; NumVGPRsForWavesPerEU: 243
; Occupancy: 5
; WaveLimiterHint : 1
; COMPUTE_PGM_RSRC2:SCRATCH_EN: 0
; COMPUTE_PGM_RSRC2:USER_SGPR: 2
; COMPUTE_PGM_RSRC2:TRAP_HANDLER: 0
; COMPUTE_PGM_RSRC2:TGID_X_EN: 1
; COMPUTE_PGM_RSRC2:TGID_Y_EN: 0
; COMPUTE_PGM_RSRC2:TGID_Z_EN: 0
; COMPUTE_PGM_RSRC2:TIDIG_COMP_CNT: 0
	.text
	.p2alignl 7, 3214868480
	.fill 96, 4, 3214868480
	.type	__hip_cuid_1a1e8c3ef7afc252,@object ; @__hip_cuid_1a1e8c3ef7afc252
	.section	.bss,"aw",@nobits
	.globl	__hip_cuid_1a1e8c3ef7afc252
__hip_cuid_1a1e8c3ef7afc252:
	.byte	0                               ; 0x0
	.size	__hip_cuid_1a1e8c3ef7afc252, 1

	.ident	"AMD clang version 19.0.0git (https://github.com/RadeonOpenCompute/llvm-project roc-6.4.0 25133 c7fe45cf4b819c5991fe208aaa96edf142730f1d)"
	.section	".note.GNU-stack","",@progbits
	.addrsig
	.addrsig_sym __hip_cuid_1a1e8c3ef7afc252
	.amdgpu_metadata
---
amdhsa.kernels:
  - .args:
      - .actual_access:  read_only
        .address_space:  global
        .offset:         0
        .size:           8
        .value_kind:     global_buffer
      - .offset:         8
        .size:           8
        .value_kind:     by_value
      - .actual_access:  read_only
        .address_space:  global
        .offset:         16
        .size:           8
        .value_kind:     global_buffer
      - .actual_access:  read_only
        .address_space:  global
        .offset:         24
        .size:           8
        .value_kind:     global_buffer
      - .actual_access:  read_only
        .address_space:  global
        .offset:         32
        .size:           8
        .value_kind:     global_buffer
      - .offset:         40
        .size:           8
        .value_kind:     by_value
      - .actual_access:  read_only
        .address_space:  global
        .offset:         48
        .size:           8
        .value_kind:     global_buffer
      - .actual_access:  read_only
        .address_space:  global
        .offset:         56
        .size:           8
        .value_kind:     global_buffer
      - .offset:         64
        .size:           4
        .value_kind:     by_value
      - .actual_access:  read_only
        .address_space:  global
        .offset:         72
        .size:           8
        .value_kind:     global_buffer
      - .actual_access:  read_only
        .address_space:  global
        .offset:         80
        .size:           8
        .value_kind:     global_buffer
      - .actual_access:  read_only
        .address_space:  global
        .offset:         88
        .size:           8
        .value_kind:     global_buffer
      - .actual_access:  write_only
        .address_space:  global
        .offset:         96
        .size:           8
        .value_kind:     global_buffer
    .group_segment_fixed_size: 0
    .kernarg_segment_align: 8
    .kernarg_segment_size: 104
    .language:       OpenCL C
    .language_version:
      - 2
      - 0
    .max_flat_workgroup_size: 117
    .name:           fft_rtc_back_len1170_factors_2_13_3_5_3_wgs_117_tpt_117_dp_op_CI_CI_unitstride_sbrr_dirReg
    .private_segment_fixed_size: 0
    .sgpr_count:     46
    .sgpr_spill_count: 0
    .symbol:         fft_rtc_back_len1170_factors_2_13_3_5_3_wgs_117_tpt_117_dp_op_CI_CI_unitstride_sbrr_dirReg.kd
    .uniform_work_group_size: 1
    .uses_dynamic_stack: false
    .vgpr_count:     243
    .vgpr_spill_count: 0
    .wavefront_size: 32
    .workgroup_processor_mode: 1
amdhsa.target:   amdgcn-amd-amdhsa--gfx1201
amdhsa.version:
  - 1
  - 2
...

	.end_amdgpu_metadata
